;; amdgpu-corpus repo=FlagOpen/FlagGems kind=triton arch=gfx950 opt=O3 lang=triton
	.amdgcn_target "amdgcn-amd-amdhsa--gfx950"
	.amdhsa_code_object_version 5
	.text
	.globl	max_kernel                      ; -- Begin function max_kernel
	.p2align	8
	.type	max_kernel,@function
max_kernel:                             ; @max_kernel
.Lfunc_begin0:
	.cfi_sections .debug_frame
	.cfi_startproc
; %bb.49:
	.file	1 "/root/src/amdgpu-assembly/repos/FlagOpen__FlagGems/triton_aot_kernels" "max_aot.py"
	.loc	1 23 0 prologue_end             ; max_aot.py:23:0
	s_load_dwordx2 s[2:3], s[0:1], 0x0
	s_load_dwordx8 s[4:11], s[0:1], 0x8
	s_load_dwordx2 s[12:13], s[0:1], 0x28
	s_waitcnt lgkmcnt(0)
	s_branch .LBB0_0
	.loc	1 0 0 is_stmt 0                 ; :0:0
.Ltmp0:
	.p2align	8
; %bb.50:
.LBB0_0:
.Ltmp1:
	.loc	1 58 29 is_stmt 1               ; max_aot.py:58:29
	v_readfirstlane_b32 s0, v0
	.loc	1 34 23                         ; max_aot.py:34:23
	s_lshl_b32 s34, s14, 2
	.loc	1 34 46 is_stmt 0               ; max_aot.py:34:46
	s_and_b32 s33, s0, 0xc0
	v_and_b32_e32 v25, 3, v0
	.loc	1 41 25 is_stmt 1               ; max_aot.py:41:25
	s_cmp_lt_i32 s9, 1
	v_mov_b32_e32 v13, 0xff800000
	s_cbranch_scc1 .LBB0_43
; %bb.1:                                ; %.lr.ph
	.loc	1 34 33                         ; max_aot.py:34:33
	s_or_b32 s1, s34, 1
	s_or_b32 s10, s34, 2
	;; [unrolled: 1-line block ×3, first 2 shown]
	.loc	1 45 35                         ; max_aot.py:45:35
	s_cmp_lt_i32 s34, s8
	s_cselect_b64 s[20:21], -1, 0
	s_cmp_lt_i32 s1, s8
	s_cselect_b64 s[22:23], -1, 0
	;; [unrolled: 2-line block ×4, first 2 shown]
	s_lshr_b32 s0, s0, 4
	s_and_b32 s0, s0, 12
	.loc	1 43 37                         ; max_aot.py:43:37
	s_mul_i32 s12, s9, s34
	s_add_i32 s36, s0, 0
	v_cmp_gt_u32_e64 s[0:1], 16, v0
	v_cmp_eq_u32_e64 s[10:11], 0, v25
	s_mul_i32 s13, s9, 3
	s_and_b64 s[28:29], s[0:1], s[10:11]
	.loc	1 41 25                         ; max_aot.py:41:25
	s_add_i32 s10, s12, s33
	.loc	1 34 46                         ; max_aot.py:34:46
	v_and_b32_e32 v2, 63, v0
	.loc	1 41 25                         ; max_aot.py:41:25
	s_add_i32 s11, s10, s13
	.loc	1 34 46                         ; max_aot.py:34:46
	v_or_b32_e32 v14, s33, v2
	.loc	1 41 25                         ; max_aot.py:41:25
	v_add_u32_e32 v29, s11, v2
	s_lshl1_add_u32 s11, s9, s10
	.loc	1 42 36                         ; max_aot.py:42:36
	v_or_b32_e32 v16, 0x100, v14
	v_or_b32_e32 v18, 0x200, v14
	;; [unrolled: 1-line block ×3, first 2 shown]
	v_lshlrev_b32_e32 v1, 2, v0
	.loc	1 41 25                         ; max_aot.py:41:25
	v_add_u32_e32 v30, s11, v2
	s_add_i32 s11, s10, s9
	v_mov_b32_e32 v10, 0xff800000
	v_xor_b32_e32 v26, 0x80, v1
	s_mov_b32 s35, 0
	v_cmp_eq_u32_e32 vcc, 0, v2
	v_add_u32_e32 v27, 0, v1
.Ltmp2:
	.file	2 "/root/.local/lib/python3.13/site-packages/triton/language" "standard.py"
	.loc	2 154 35                        ; standard.py:154:35 @[ standard.py:160:59 @[ standard.py:181:58 @[ max_aot.py:48:38 ] ] ]
	v_mov_b32_e32 v1, v14
	v_mov_b32_e32 v15, v16
	;; [unrolled: 1-line block ×4, first 2 shown]
.Ltmp3:
	.loc	1 41 25                         ; max_aot.py:41:25
	v_add_u32_e32 v28, s33, v2
	v_add_u32_e32 v31, s11, v2
	;; [unrolled: 1-line block ×3, first 2 shown]
	v_mov_b64_e32 v[4:5], 0
	v_mov_b64_e32 v[2:3], 0
	;; [unrolled: 1-line block ×4, first 2 shown]
	v_mov_b32_e32 v33, 0
	v_mov_b32_e32 v11, v10
	v_mov_b32_e32 v12, v10
	v_mov_b32_e32 v13, v10
	s_branch .LBB0_3
.LBB0_2:                                ; %.critedge8
                                        ;   in Loop: Header=BB0_3 Depth=1
	.loc	1 0 25 is_stmt 0                ; max_aot.py:0:25
	s_or_b64 exec, exec, s[16:17]
.Ltmp4:
	.loc	2 181 58 is_stmt 1              ; standard.py:181:58 @[ max_aot.py:48:38 ]
	s_waitcnt lgkmcnt(0)
	s_barrier
	ds_read2_b32 v[22:23], v33 offset1:4
	ds_read2_b32 v[34:35], v33 offset0:8 offset1:12
	ds_read2_b32 v[36:37], v33 offset0:16 offset1:20
	;; [unrolled: 1-line block ×3, first 2 shown]
.Ltmp5:
	.loc	1 49 34                         ; max_aot.py:49:34
	s_waitcnt lgkmcnt(3)
	v_cmp_gt_f32_e64 s[10:11], v22, v10
	v_cmp_gt_f32_e64 s[12:13], v23, v11
	.loc	1 50 56                         ; max_aot.py:50:56
	s_nop 0
	v_cndmask_b32_e64 v10, v10, v22, s[10:11]
	.loc	1 49 34                         ; max_aot.py:49:34
	s_waitcnt lgkmcnt(2)
	v_cmp_gt_f32_e64 s[14:15], v34, v12
	.loc	1 50 56                         ; max_aot.py:50:56
	v_cndmask_b32_e64 v11, v11, v23, s[12:13]
	.loc	1 49 34                         ; max_aot.py:49:34
	v_cmp_gt_f32_e64 s[16:17], v35, v13
	.loc	1 51 49                         ; max_aot.py:51:49
	s_waitcnt lgkmcnt(1)
	v_add_u32_e32 v21, s35, v36
	v_add_u32_e32 v22, s35, v37
	s_waitcnt lgkmcnt(0)
	v_add_u32_e32 v23, s35, v38
	.loc	1 51 60 is_stmt 0               ; max_aot.py:51:60
	v_add_u32_e32 v24, s35, v39
	.loc	1 50 56 is_stmt 1               ; max_aot.py:50:56
	v_cndmask_b32_e64 v12, v12, v34, s[14:15]
	v_cndmask_b32_e64 v13, v13, v35, s[16:17]
	.loc	1 51 60                         ; max_aot.py:51:60
	v_ashrrev_i32_e32 v34, 31, v21
	v_ashrrev_i32_e32 v35, 31, v22
	;; [unrolled: 1-line block ×4, first 2 shown]
	.loc	1 41 25                         ; max_aot.py:41:25
	s_addk_i32 s35, 0x400
	.loc	1 51 60                         ; max_aot.py:51:60
	v_cndmask_b32_e64 v7, v7, v34, s[10:11]
	v_cndmask_b32_e64 v6, v6, v21, s[10:11]
	;; [unrolled: 1-line block ×7, first 2 shown]
	.loc	1 41 25                         ; max_aot.py:41:25
	s_cmp_lt_i32 s35, s9
	.loc	1 51 60                         ; max_aot.py:51:60
	v_cndmask_b32_e64 v4, v4, v24, s[16:17]
	.loc	1 41 25                         ; max_aot.py:41:25
	s_cbranch_scc0 .LBB0_44
.LBB0_3:                                ; =>This Inner Loop Header: Depth=1
	.loc	1 42 23                         ; max_aot.py:42:23
	v_add_u32_e32 v34, s35, v28
	.loc	1 45 61                         ; max_aot.py:45:61
	v_cmp_gt_i32_e64 s[16:17], s9, v34
	.loc	1 47 27                         ; max_aot.py:47:27
	v_mov_b32_e32 v24, 0xff800000
	.loc	1 43 41                         ; max_aot.py:43:41
	v_add_u32_e32 v22, s35, v32
	.loc	1 45 41                         ; max_aot.py:45:41
	s_and_b64 s[12:13], s[20:21], s[16:17]
	v_mov_b32_e32 v21, v24
	.loc	1 47 27                         ; max_aot.py:47:27
	s_and_saveexec_b64 s[10:11], s[12:13]
	s_cbranch_execz .LBB0_5
; %bb.4:                                ;   in Loop: Header=BB0_3 Depth=1
	.loc	1 0 27 is_stmt 0                ; max_aot.py:0:27
	v_ashrrev_i32_e32 v23, 31, v22
	v_lshl_add_u64 v[36:37], v[22:23], 2, s[2:3]
	.loc	1 47 27                         ; max_aot.py:47:27
	global_load_dword v21, v[36:37], off
.LBB0_5:                                ;   in Loop: Header=BB0_3 Depth=1
	.loc	1 0 27                          ; max_aot.py:0:27
	s_or_b64 exec, exec, s[10:11]
	.loc	1 42 23 is_stmt 1               ; max_aot.py:42:23
	v_add_u32_e32 v23, 0x100, v34
	.loc	1 45 61                         ; max_aot.py:45:61
	v_cmp_gt_i32_e64 s[10:11], s9, v23
	.loc	1 45 41 is_stmt 0               ; max_aot.py:45:41
	s_and_b64 s[14:15], s[20:21], s[10:11]
	.loc	1 47 27 is_stmt 1               ; max_aot.py:47:27
	s_and_saveexec_b64 s[12:13], s[14:15]
	s_cbranch_execz .LBB0_7
; %bb.6:                                ;   in Loop: Header=BB0_3 Depth=1
	.loc	1 43 41                         ; max_aot.py:43:41
	v_add_u32_e32 v36, 0x100, v22
	.loc	1 46 25                         ; max_aot.py:46:25
	v_ashrrev_i32_e32 v37, 31, v36
	v_lshl_add_u64 v[36:37], v[36:37], 2, s[2:3]
	.loc	1 47 27                         ; max_aot.py:47:27
	global_load_dword v24, v[36:37], off
.LBB0_7:                                ;   in Loop: Header=BB0_3 Depth=1
	.loc	1 0 27 is_stmt 0                ; max_aot.py:0:27
	s_or_b64 exec, exec, s[12:13]
	.loc	1 42 23 is_stmt 1               ; max_aot.py:42:23
	v_add_u32_e32 v23, 0x200, v34
	.loc	1 45 61                         ; max_aot.py:45:61
	v_cmp_gt_i32_e64 s[12:13], s9, v23
	.loc	1 47 27                         ; max_aot.py:47:27
	v_mov_b32_e32 v36, 0xff800000
	.loc	1 45 41                         ; max_aot.py:45:41
	s_and_b64 s[18:19], s[20:21], s[12:13]
	v_mov_b32_e32 v38, v36
	.loc	1 47 27                         ; max_aot.py:47:27
	s_and_saveexec_b64 s[14:15], s[18:19]
	s_cbranch_execz .LBB0_9
; %bb.8:                                ;   in Loop: Header=BB0_3 Depth=1
	.loc	1 43 41                         ; max_aot.py:43:41
	v_add_u32_e32 v38, 0x200, v22
	.loc	1 46 25                         ; max_aot.py:46:25
	v_ashrrev_i32_e32 v39, 31, v38
	v_lshl_add_u64 v[38:39], v[38:39], 2, s[2:3]
	.loc	1 47 27                         ; max_aot.py:47:27
	global_load_dword v38, v[38:39], off
.LBB0_9:                                ;   in Loop: Header=BB0_3 Depth=1
	.loc	1 0 27 is_stmt 0                ; max_aot.py:0:27
	s_or_b64 exec, exec, s[14:15]
	.loc	1 43 41 is_stmt 1               ; max_aot.py:43:41
	v_add_u32_e32 v23, 0x300, v34
	.loc	1 45 61                         ; max_aot.py:45:61
	v_cmp_gt_i32_e64 s[14:15], s9, v23
	.loc	1 45 41 is_stmt 0               ; max_aot.py:45:41
	s_and_b64 s[30:31], s[20:21], s[14:15]
	.loc	1 47 27 is_stmt 1               ; max_aot.py:47:27
	s_and_saveexec_b64 s[18:19], s[30:31]
	s_cbranch_execz .LBB0_11
; %bb.10:                               ;   in Loop: Header=BB0_3 Depth=1
	.loc	1 43 41                         ; max_aot.py:43:41
	v_add_u32_e32 v22, 0x300, v22
	.loc	1 46 25                         ; max_aot.py:46:25
	v_ashrrev_i32_e32 v23, 31, v22
	v_lshl_add_u64 v[22:23], v[22:23], 2, s[2:3]
	.loc	1 47 27                         ; max_aot.py:47:27
	global_load_dword v36, v[22:23], off
.LBB0_11:                               ;   in Loop: Header=BB0_3 Depth=1
	.loc	1 0 27 is_stmt 0                ; max_aot.py:0:27
	s_or_b64 exec, exec, s[18:19]
	.loc	1 47 27                         ; max_aot.py:47:27
	v_mov_b32_e32 v41, 0xff800000
	.loc	1 43 41 is_stmt 1               ; max_aot.py:43:41
	v_add_u32_e32 v22, s35, v31
	.loc	1 45 41                         ; max_aot.py:45:41
	s_and_b64 s[30:31], s[22:23], s[16:17]
	v_mov_b32_e32 v40, v41
	.loc	1 47 27                         ; max_aot.py:47:27
	s_and_saveexec_b64 s[18:19], s[30:31]
	s_cbranch_execz .LBB0_13
; %bb.12:                               ;   in Loop: Header=BB0_3 Depth=1
	.loc	1 46 25                         ; max_aot.py:46:25
	v_ashrrev_i32_e32 v23, 31, v22
	v_lshl_add_u64 v[34:35], v[22:23], 2, s[2:3]
	.loc	1 47 27                         ; max_aot.py:47:27
	global_load_dword v40, v[34:35], off
.LBB0_13:                               ;   in Loop: Header=BB0_3 Depth=1
	.loc	1 0 27 is_stmt 0                ; max_aot.py:0:27
	s_or_b64 exec, exec, s[18:19]
	.loc	1 45 41 is_stmt 1               ; max_aot.py:45:41
	s_and_b64 s[30:31], s[22:23], s[10:11]
	.loc	1 47 27                         ; max_aot.py:47:27
	s_and_saveexec_b64 s[18:19], s[30:31]
	s_cbranch_execz .LBB0_15
; %bb.14:                               ;   in Loop: Header=BB0_3 Depth=1
	.loc	1 43 41                         ; max_aot.py:43:41
	v_add_u32_e32 v34, 0x100, v22
	.loc	1 46 25                         ; max_aot.py:46:25
	v_ashrrev_i32_e32 v35, 31, v34
	v_lshl_add_u64 v[34:35], v[34:35], 2, s[2:3]
	.loc	1 47 27                         ; max_aot.py:47:27
	global_load_dword v41, v[34:35], off
.LBB0_15:                               ;   in Loop: Header=BB0_3 Depth=1
	.loc	1 0 27 is_stmt 0                ; max_aot.py:0:27
	s_or_b64 exec, exec, s[18:19]
	.loc	1 47 27                         ; max_aot.py:47:27
	v_mov_b32_e32 v43, 0xff800000
	.loc	1 45 41 is_stmt 1               ; max_aot.py:45:41
	s_and_b64 s[30:31], s[22:23], s[12:13]
	v_mov_b32_e32 v45, v43
	.loc	1 47 27                         ; max_aot.py:47:27
	s_and_saveexec_b64 s[18:19], s[30:31]
	s_cbranch_execz .LBB0_17
; %bb.16:                               ;   in Loop: Header=BB0_3 Depth=1
	.loc	1 43 41                         ; max_aot.py:43:41
	v_add_u32_e32 v34, 0x200, v22
	.loc	1 46 25                         ; max_aot.py:46:25
	v_ashrrev_i32_e32 v35, 31, v34
	v_lshl_add_u64 v[34:35], v[34:35], 2, s[2:3]
	.loc	1 47 27                         ; max_aot.py:47:27
	global_load_dword v45, v[34:35], off
.LBB0_17:                               ;   in Loop: Header=BB0_3 Depth=1
	.loc	1 0 27 is_stmt 0                ; max_aot.py:0:27
	s_or_b64 exec, exec, s[18:19]
	.loc	1 45 41 is_stmt 1               ; max_aot.py:45:41
	s_and_b64 s[30:31], s[22:23], s[14:15]
	.loc	1 47 27                         ; max_aot.py:47:27
	s_and_saveexec_b64 s[18:19], s[30:31]
	s_cbranch_execz .LBB0_19
; %bb.18:                               ;   in Loop: Header=BB0_3 Depth=1
	.loc	1 43 41                         ; max_aot.py:43:41
	v_add_u32_e32 v22, 0x300, v22
	.loc	1 46 25                         ; max_aot.py:46:25
	v_ashrrev_i32_e32 v23, 31, v22
	v_lshl_add_u64 v[22:23], v[22:23], 2, s[2:3]
	.loc	1 47 27                         ; max_aot.py:47:27
	global_load_dword v43, v[22:23], off
.LBB0_19:                               ;   in Loop: Header=BB0_3 Depth=1
	.loc	1 0 27 is_stmt 0                ; max_aot.py:0:27
	s_or_b64 exec, exec, s[18:19]
	.loc	1 47 27                         ; max_aot.py:47:27
	v_mov_b32_e32 v35, 0xff800000
	.loc	1 43 41 is_stmt 1               ; max_aot.py:43:41
	v_add_u32_e32 v22, s35, v30
	.loc	1 45 41                         ; max_aot.py:45:41
	s_and_b64 s[30:31], s[24:25], s[16:17]
	v_mov_b32_e32 v34, v35
	.loc	1 47 27                         ; max_aot.py:47:27
	s_and_saveexec_b64 s[18:19], s[30:31]
	s_cbranch_execz .LBB0_21
; %bb.20:                               ;   in Loop: Header=BB0_3 Depth=1
	.loc	1 46 25                         ; max_aot.py:46:25
	v_ashrrev_i32_e32 v23, 31, v22
	v_lshl_add_u64 v[46:47], v[22:23], 2, s[2:3]
	.loc	1 47 27                         ; max_aot.py:47:27
	global_load_dword v34, v[46:47], off
.LBB0_21:                               ;   in Loop: Header=BB0_3 Depth=1
	.loc	1 0 27 is_stmt 0                ; max_aot.py:0:27
	s_or_b64 exec, exec, s[18:19]
	.loc	1 45 41 is_stmt 1               ; max_aot.py:45:41
	s_and_b64 s[30:31], s[24:25], s[10:11]
	.loc	1 47 27                         ; max_aot.py:47:27
	s_and_saveexec_b64 s[18:19], s[30:31]
	s_cbranch_execz .LBB0_23
; %bb.22:                               ;   in Loop: Header=BB0_3 Depth=1
	.loc	1 43 41                         ; max_aot.py:43:41
	v_add_u32_e32 v46, 0x100, v22
	.loc	1 46 25                         ; max_aot.py:46:25
	v_ashrrev_i32_e32 v47, 31, v46
	v_lshl_add_u64 v[46:47], v[46:47], 2, s[2:3]
	.loc	1 47 27                         ; max_aot.py:47:27
	global_load_dword v35, v[46:47], off
.LBB0_23:                               ;   in Loop: Header=BB0_3 Depth=1
	.loc	1 0 27 is_stmt 0                ; max_aot.py:0:27
	s_or_b64 exec, exec, s[18:19]
	.loc	1 47 27                         ; max_aot.py:47:27
	v_mov_b32_e32 v37, 0xff800000
	.loc	1 45 41 is_stmt 1               ; max_aot.py:45:41
	s_and_b64 s[30:31], s[24:25], s[12:13]
	v_mov_b32_e32 v39, v37
	.loc	1 47 27                         ; max_aot.py:47:27
	s_and_saveexec_b64 s[18:19], s[30:31]
	s_cbranch_execz .LBB0_25
; %bb.24:                               ;   in Loop: Header=BB0_3 Depth=1
	.loc	1 43 41                         ; max_aot.py:43:41
	v_add_u32_e32 v46, 0x200, v22
	.loc	1 46 25                         ; max_aot.py:46:25
	v_ashrrev_i32_e32 v47, 31, v46
	v_lshl_add_u64 v[46:47], v[46:47], 2, s[2:3]
	.loc	1 47 27                         ; max_aot.py:47:27
	global_load_dword v39, v[46:47], off
.LBB0_25:                               ;   in Loop: Header=BB0_3 Depth=1
	.loc	1 0 27 is_stmt 0                ; max_aot.py:0:27
	s_or_b64 exec, exec, s[18:19]
	.loc	1 45 41 is_stmt 1               ; max_aot.py:45:41
	s_and_b64 s[30:31], s[24:25], s[14:15]
	.loc	1 47 27                         ; max_aot.py:47:27
	s_and_saveexec_b64 s[18:19], s[30:31]
	s_cbranch_execz .LBB0_27
; %bb.26:                               ;   in Loop: Header=BB0_3 Depth=1
	.loc	1 43 41                         ; max_aot.py:43:41
	v_add_u32_e32 v22, 0x300, v22
	.loc	1 46 25                         ; max_aot.py:46:25
	v_ashrrev_i32_e32 v23, 31, v22
	v_lshl_add_u64 v[22:23], v[22:23], 2, s[2:3]
	.loc	1 47 27                         ; max_aot.py:47:27
	global_load_dword v37, v[22:23], off
.LBB0_27:                               ;   in Loop: Header=BB0_3 Depth=1
	.loc	1 0 27 is_stmt 0                ; max_aot.py:0:27
	s_or_b64 exec, exec, s[18:19]
	.loc	1 47 27                         ; max_aot.py:47:27
	v_mov_b32_e32 v42, 0xff800000
	.loc	1 43 41 is_stmt 1               ; max_aot.py:43:41
	v_add_u32_e32 v22, s35, v29
	.loc	1 45 41                         ; max_aot.py:45:41
	s_and_b64 s[18:19], s[26:27], s[16:17]
	v_mov_b32_e32 v23, v42
	.loc	1 47 27                         ; max_aot.py:47:27
	s_and_saveexec_b64 s[16:17], s[18:19]
	s_cbranch_execz .LBB0_29
; %bb.28:                               ;   in Loop: Header=BB0_3 Depth=1
	.loc	1 46 25                         ; max_aot.py:46:25
	v_ashrrev_i32_e32 v23, 31, v22
	v_lshl_add_u64 v[46:47], v[22:23], 2, s[2:3]
	.loc	1 47 27                         ; max_aot.py:47:27
	global_load_dword v23, v[46:47], off
.LBB0_29:                               ;   in Loop: Header=BB0_3 Depth=1
	.loc	1 0 27 is_stmt 0                ; max_aot.py:0:27
	s_or_b64 exec, exec, s[16:17]
	.loc	1 45 41 is_stmt 1               ; max_aot.py:45:41
	s_and_b64 s[16:17], s[26:27], s[10:11]
	.loc	1 47 27                         ; max_aot.py:47:27
	s_and_saveexec_b64 s[10:11], s[16:17]
	s_cbranch_execz .LBB0_31
; %bb.30:                               ;   in Loop: Header=BB0_3 Depth=1
	.loc	1 43 41                         ; max_aot.py:43:41
	v_add_u32_e32 v46, 0x100, v22
	.loc	1 46 25                         ; max_aot.py:46:25
	v_ashrrev_i32_e32 v47, 31, v46
	v_lshl_add_u64 v[46:47], v[46:47], 2, s[2:3]
	.loc	1 47 27                         ; max_aot.py:47:27
	global_load_dword v42, v[46:47], off
.LBB0_31:                               ;   in Loop: Header=BB0_3 Depth=1
	.loc	1 0 27 is_stmt 0                ; max_aot.py:0:27
	s_or_b64 exec, exec, s[10:11]
	.loc	1 47 27                         ; max_aot.py:47:27
	v_mov_b32_e32 v44, 0xff800000
	.loc	1 45 41 is_stmt 1               ; max_aot.py:45:41
	s_and_b64 s[12:13], s[26:27], s[12:13]
	v_mov_b32_e32 v46, v44
	.loc	1 47 27                         ; max_aot.py:47:27
	s_and_saveexec_b64 s[10:11], s[12:13]
	s_cbranch_execz .LBB0_33
; %bb.32:                               ;   in Loop: Header=BB0_3 Depth=1
	.loc	1 43 41                         ; max_aot.py:43:41
	v_add_u32_e32 v46, 0x200, v22
	.loc	1 46 25                         ; max_aot.py:46:25
	v_ashrrev_i32_e32 v47, 31, v46
	v_lshl_add_u64 v[46:47], v[46:47], 2, s[2:3]
	.loc	1 47 27                         ; max_aot.py:47:27
	global_load_dword v46, v[46:47], off
.LBB0_33:                               ;   in Loop: Header=BB0_3 Depth=1
	.loc	1 0 27 is_stmt 0                ; max_aot.py:0:27
	s_or_b64 exec, exec, s[10:11]
	.loc	1 45 41 is_stmt 1               ; max_aot.py:45:41
	s_and_b64 s[12:13], s[26:27], s[14:15]
	.loc	1 47 27                         ; max_aot.py:47:27
	s_and_saveexec_b64 s[10:11], s[12:13]
	s_cbranch_execz .LBB0_35
; %bb.34:                               ;   in Loop: Header=BB0_3 Depth=1
	.loc	1 45 61                         ; max_aot.py:45:61
	v_add_u32_e32 v48, 0x300, v22
	.loc	1 46 25                         ; max_aot.py:46:25
	v_ashrrev_i32_e32 v49, 31, v48
	v_lshl_add_u64 v[48:49], v[48:49], 2, s[2:3]
	.loc	1 47 27                         ; max_aot.py:47:27
	global_load_dword v44, v[48:49], off
.LBB0_35:                               ;   in Loop: Header=BB0_3 Depth=1
	.loc	1 0 27 is_stmt 0                ; max_aot.py:0:27
	s_or_b64 exec, exec, s[10:11]
.Ltmp6:
	.loc	2 152 28 is_stmt 1              ; standard.py:152:28 @[ standard.py:160:59 @[ standard.py:181:58 @[ max_aot.py:48:38 ] ] ]
	s_waitcnt vmcnt(0)
	v_cmp_ge_f32_e64 s[10:11], v40, v41
	v_cmp_ge_f32_e64 s[12:13], v21, v24
.Ltmp7:
	.loc	2 181 58                        ; standard.py:181:58 @[ max_aot.py:48:38 ]
	s_waitcnt lgkmcnt(0)
.Ltmp8:
	.loc	2 153 35                        ; standard.py:153:35 @[ standard.py:160:59 @[ standard.py:181:58 @[ max_aot.py:48:38 ] ] ]
	v_cndmask_b32_e64 v22, v41, v40, s[10:11]
	v_cndmask_b32_e64 v21, v24, v21, s[12:13]
	.loc	2 154 35                        ; standard.py:154:35 @[ standard.py:160:59 @[ standard.py:181:58 @[ max_aot.py:48:38 ] ] ]
	v_cndmask_b32_e64 v24, v15, v1, s[10:11]
	v_cndmask_b32_e64 v40, v16, v14, s[12:13]
	.loc	2 152 28                        ; standard.py:152:28 @[ standard.py:160:59 @[ standard.py:181:58 @[ max_aot.py:48:38 ] ] ]
	v_cmp_ge_f32_e64 s[10:11], v22, v45
	v_cmp_ge_f32_e64 s[12:13], v21, v38
.Ltmp9:
	.loc	2 181 58                        ; standard.py:181:58 @[ max_aot.py:48:38 ]
	s_barrier
.Ltmp10:
	.loc	2 153 35                        ; standard.py:153:35 @[ standard.py:160:59 @[ standard.py:181:58 @[ max_aot.py:48:38 ] ] ]
	v_cndmask_b32_e64 v22, v45, v22, s[10:11]
	v_cndmask_b32_e64 v21, v38, v21, s[12:13]
	.loc	2 154 35                        ; standard.py:154:35 @[ standard.py:160:59 @[ standard.py:181:58 @[ max_aot.py:48:38 ] ] ]
	v_cndmask_b32_e64 v38, v18, v40, s[12:13]
	v_cndmask_b32_e64 v24, v17, v24, s[10:11]
	.loc	2 152 28                        ; standard.py:152:28 @[ standard.py:160:59 @[ standard.py:181:58 @[ max_aot.py:48:38 ] ] ]
	v_cmp_ge_f32_e64 s[10:11], v22, v43
	v_cmp_ge_f32_e64 s[12:13], v21, v36
	.loc	2 153 35                        ; standard.py:153:35 @[ standard.py:160:59 @[ standard.py:181:58 @[ max_aot.py:48:38 ] ] ]
	s_nop 0
	v_cndmask_b32_e64 v22, v43, v22, s[10:11]
	v_cndmask_b32_e64 v21, v36, v21, s[12:13]
	.loc	2 154 35                        ; standard.py:154:35 @[ standard.py:160:59 @[ standard.py:181:58 @[ max_aot.py:48:38 ] ] ]
	v_cndmask_b32_e64 v24, v19, v24, s[10:11]
	v_cndmask_b32_e64 v36, v20, v38, s[12:13]
.Ltmp11:
	.loc	2 181 58                        ; standard.py:181:58 @[ max_aot.py:48:38 ]
	ds_bpermute_b32 v38, v26, v21
	ds_bpermute_b32 v40, v26, v22
	;; [unrolled: 1-line block ×4, first 2 shown]
.Ltmp12:
	.loc	2 149 24                        ; standard.py:149:24 @[ standard.py:160:59 @[ standard.py:181:58 @[ max_aot.py:48:38 ] ] ]
	s_waitcnt lgkmcnt(3)
	v_cmp_eq_f32_e64 s[10:11], v21, v38
	s_waitcnt lgkmcnt(2)
	v_cmp_eq_f32_e64 s[12:13], v22, v40
	.loc	2 149 44 is_stmt 0              ; standard.py:149:44 @[ standard.py:160:59 @[ standard.py:181:58 @[ max_aot.py:48:38 ] ] ]
	s_waitcnt lgkmcnt(1)
	v_cmp_lt_i32_e64 s[14:15], v36, v41
	s_waitcnt lgkmcnt(0)
	v_cmp_lt_i32_e64 s[16:17], v24, v43
	.loc	2 149 35                        ; standard.py:149:35 @[ standard.py:160:59 @[ standard.py:181:58 @[ max_aot.py:48:38 ] ] ]
	s_and_b64 s[16:17], s[12:13], s[16:17]
	s_and_b64 s[14:15], s[10:11], s[14:15]
	.loc	2 152 18 is_stmt 1              ; standard.py:152:18 @[ standard.py:160:59 @[ standard.py:181:58 @[ max_aot.py:48:38 ] ] ]
	v_cmp_gt_f32_e64 s[10:11], v22, v40
	v_cmp_gt_f32_e64 s[12:13], v21, v38
	.loc	2 152 28 is_stmt 0              ; standard.py:152:28 @[ standard.py:160:59 @[ standard.py:181:58 @[ max_aot.py:48:38 ] ] ]
	s_or_b64 s[10:11], s[10:11], s[16:17]
	s_or_b64 s[12:13], s[12:13], s[14:15]
	.loc	2 154 35 is_stmt 1              ; standard.py:154:35 @[ standard.py:160:59 @[ standard.py:181:58 @[ max_aot.py:48:38 ] ] ]
	v_cndmask_b32_e64 v24, v43, v24, s[10:11]
	v_cndmask_b32_e64 v36, v41, v36, s[12:13]
	.loc	2 153 35                        ; standard.py:153:35 @[ standard.py:160:59 @[ standard.py:181:58 @[ max_aot.py:48:38 ] ] ]
	v_cndmask_b32_e64 v22, v40, v22, s[10:11]
	v_cndmask_b32_e64 v21, v38, v21, s[12:13]
.Ltmp13:
	.loc	2 181 58                        ; standard.py:181:58 @[ max_aot.py:48:38 ]
	ds_swizzle_b32 v41, v36 offset:swizzle(SWAP,16)
	ds_swizzle_b32 v43, v24 offset:swizzle(SWAP,16)
	;; [unrolled: 1-line block ×4, first 2 shown]
.Ltmp14:
	.loc	2 149 44                        ; standard.py:149:44 @[ standard.py:160:59 @[ standard.py:181:58 @[ max_aot.py:48:38 ] ] ]
	s_waitcnt lgkmcnt(3)
	v_cmp_lt_i32_e64 s[10:11], v36, v41
	s_waitcnt lgkmcnt(2)
	v_cmp_lt_i32_e64 s[12:13], v24, v43
	.loc	2 149 24 is_stmt 0              ; standard.py:149:24 @[ standard.py:160:59 @[ standard.py:181:58 @[ max_aot.py:48:38 ] ] ]
	s_waitcnt lgkmcnt(1)
	v_cmp_eq_f32_e64 s[14:15], v21, v38
	s_waitcnt lgkmcnt(0)
	v_cmp_eq_f32_e64 s[16:17], v22, v40
	.loc	2 149 35                        ; standard.py:149:35 @[ standard.py:160:59 @[ standard.py:181:58 @[ max_aot.py:48:38 ] ] ]
	s_and_b64 s[16:17], s[16:17], s[12:13]
	s_and_b64 s[14:15], s[14:15], s[10:11]
	.loc	2 152 18 is_stmt 1              ; standard.py:152:18 @[ standard.py:160:59 @[ standard.py:181:58 @[ max_aot.py:48:38 ] ] ]
	v_cmp_gt_f32_e64 s[10:11], v22, v40
	v_cmp_gt_f32_e64 s[12:13], v21, v38
	.loc	2 152 28 is_stmt 0              ; standard.py:152:28 @[ standard.py:160:59 @[ standard.py:181:58 @[ max_aot.py:48:38 ] ] ]
	s_or_b64 s[10:11], s[10:11], s[16:17]
	s_or_b64 s[12:13], s[12:13], s[14:15]
	.loc	2 153 35 is_stmt 1              ; standard.py:153:35 @[ standard.py:160:59 @[ standard.py:181:58 @[ max_aot.py:48:38 ] ] ]
	v_cndmask_b32_e64 v22, v40, v22, s[10:11]
	v_cndmask_b32_e64 v21, v38, v21, s[12:13]
	.loc	2 154 35                        ; standard.py:154:35 @[ standard.py:160:59 @[ standard.py:181:58 @[ max_aot.py:48:38 ] ] ]
	v_cndmask_b32_e64 v24, v43, v24, s[10:11]
	v_cndmask_b32_e64 v36, v41, v36, s[12:13]
.Ltmp15:
	.loc	2 181 58                        ; standard.py:181:58 @[ max_aot.py:48:38 ]
	v_mov_b32_e32 v38, v21
	v_mov_b32_e32 v40, v36
	;; [unrolled: 1-line block ×4, first 2 shown]
	v_mov_b32_dpp v38, v38 row_shr:8 row_mask:0xf bank_mask:0xc
	v_mov_b32_dpp v40, v40 row_shr:8 row_mask:0xf bank_mask:0xc
	;; [unrolled: 1-line block ×4, first 2 shown]
	v_mov_b32_dpp v38, v21 row_shl:8 row_mask:0xf bank_mask:0x3
	v_mov_b32_dpp v40, v36 row_shl:8 row_mask:0xf bank_mask:0x3
	;; [unrolled: 1-line block ×4, first 2 shown]
.Ltmp16:
	.loc	2 149 24                        ; standard.py:149:24 @[ standard.py:160:59 @[ standard.py:181:58 @[ max_aot.py:48:38 ] ] ]
	v_cmp_eq_f32_e64 s[10:11], v21, v38
	v_cmp_eq_f32_e64 s[12:13], v22, v41
	.loc	2 149 44 is_stmt 0              ; standard.py:149:44 @[ standard.py:160:59 @[ standard.py:181:58 @[ max_aot.py:48:38 ] ] ]
	v_cmp_lt_i32_e64 s[14:15], v36, v40
	v_cmp_lt_i32_e64 s[16:17], v24, v43
	.loc	2 149 35                        ; standard.py:149:35 @[ standard.py:160:59 @[ standard.py:181:58 @[ max_aot.py:48:38 ] ] ]
	s_and_b64 s[16:17], s[12:13], s[16:17]
	s_and_b64 s[14:15], s[10:11], s[14:15]
	.loc	2 152 18 is_stmt 1              ; standard.py:152:18 @[ standard.py:160:59 @[ standard.py:181:58 @[ max_aot.py:48:38 ] ] ]
	v_cmp_gt_f32_e64 s[10:11], v22, v41
	v_cmp_gt_f32_e64 s[12:13], v21, v38
	.loc	2 152 28 is_stmt 0              ; standard.py:152:28 @[ standard.py:160:59 @[ standard.py:181:58 @[ max_aot.py:48:38 ] ] ]
	s_or_b64 s[10:11], s[10:11], s[16:17]
	s_or_b64 s[12:13], s[12:13], s[14:15]
	.loc	2 153 35 is_stmt 1              ; standard.py:153:35 @[ standard.py:160:59 @[ standard.py:181:58 @[ max_aot.py:48:38 ] ] ]
	v_cndmask_b32_e64 v22, v41, v22, s[10:11]
	v_cndmask_b32_e64 v21, v38, v21, s[12:13]
	.loc	2 154 35                        ; standard.py:154:35 @[ standard.py:160:59 @[ standard.py:181:58 @[ max_aot.py:48:38 ] ] ]
	v_cndmask_b32_e64 v24, v43, v24, s[10:11]
	v_cndmask_b32_e64 v36, v40, v36, s[12:13]
.Ltmp17:
	.loc	2 181 58                        ; standard.py:181:58 @[ max_aot.py:48:38 ]
	v_mov_b32_e32 v38, v21
	v_mov_b32_e32 v40, v36
	;; [unrolled: 1-line block ×4, first 2 shown]
	v_mov_b32_dpp v38, v38 row_shr:4 row_mask:0xf bank_mask:0xa
	v_mov_b32_dpp v40, v40 row_shr:4 row_mask:0xf bank_mask:0xa
	;; [unrolled: 1-line block ×4, first 2 shown]
	v_mov_b32_dpp v38, v21 row_shl:4 row_mask:0xf bank_mask:0x5
	v_mov_b32_dpp v40, v36 row_shl:4 row_mask:0xf bank_mask:0x5
	;; [unrolled: 1-line block ×4, first 2 shown]
.Ltmp18:
	.loc	2 149 24                        ; standard.py:149:24 @[ standard.py:160:59 @[ standard.py:181:58 @[ max_aot.py:48:38 ] ] ]
	v_cmp_eq_f32_e64 s[10:11], v21, v38
	v_cmp_eq_f32_e64 s[12:13], v22, v41
	.loc	2 149 44 is_stmt 0              ; standard.py:149:44 @[ standard.py:160:59 @[ standard.py:181:58 @[ max_aot.py:48:38 ] ] ]
	v_cmp_lt_i32_e64 s[14:15], v36, v40
	v_cmp_lt_i32_e64 s[16:17], v24, v43
	.loc	2 149 35                        ; standard.py:149:35 @[ standard.py:160:59 @[ standard.py:181:58 @[ max_aot.py:48:38 ] ] ]
	s_and_b64 s[16:17], s[12:13], s[16:17]
	s_and_b64 s[14:15], s[10:11], s[14:15]
	.loc	2 152 18 is_stmt 1              ; standard.py:152:18 @[ standard.py:160:59 @[ standard.py:181:58 @[ max_aot.py:48:38 ] ] ]
	v_cmp_gt_f32_e64 s[10:11], v22, v41
	v_cmp_gt_f32_e64 s[12:13], v21, v38
	.loc	2 152 28 is_stmt 0              ; standard.py:152:28 @[ standard.py:160:59 @[ standard.py:181:58 @[ max_aot.py:48:38 ] ] ]
	s_or_b64 s[10:11], s[10:11], s[16:17]
	s_or_b64 s[12:13], s[12:13], s[14:15]
	.loc	2 153 35 is_stmt 1              ; standard.py:153:35 @[ standard.py:160:59 @[ standard.py:181:58 @[ max_aot.py:48:38 ] ] ]
	v_cndmask_b32_e64 v22, v41, v22, s[10:11]
	v_cndmask_b32_e64 v38, v38, v21, s[12:13]
	.loc	2 154 35                        ; standard.py:154:35 @[ standard.py:160:59 @[ standard.py:181:58 @[ max_aot.py:48:38 ] ] ]
	v_cndmask_b32_e64 v24, v43, v24, s[10:11]
	v_cndmask_b32_e64 v21, v40, v36, s[12:13]
.Ltmp19:
	.loc	2 181 58                        ; standard.py:181:58 @[ max_aot.py:48:38 ]
	v_mov_b32_e32 v41, v38
	v_mov_b32_e32 v36, v21
	;; [unrolled: 1-line block ×4, first 2 shown]
	v_mov_b32_dpp v41, v41 quad_perm:[2,3,0,1] row_mask:0xf bank_mask:0xf
	v_mov_b32_dpp v36, v36 quad_perm:[2,3,0,1] row_mask:0xf bank_mask:0xf
	;; [unrolled: 1-line block ×4, first 2 shown]
.Ltmp20:
	.loc	2 149 24                        ; standard.py:149:24 @[ standard.py:160:59 @[ standard.py:181:58 @[ max_aot.py:48:38 ] ] ]
	v_cmp_eq_f32_e64 s[10:11], v22, v40
	v_cmp_eq_f32_e64 s[12:13], v38, v41
	.loc	2 149 44 is_stmt 0              ; standard.py:149:44 @[ standard.py:160:59 @[ standard.py:181:58 @[ max_aot.py:48:38 ] ] ]
	v_cmp_lt_i32_e64 s[14:15], v24, v43
	v_cmp_lt_i32_e64 s[16:17], v21, v36
	.loc	2 149 35                        ; standard.py:149:35 @[ standard.py:160:59 @[ standard.py:181:58 @[ max_aot.py:48:38 ] ] ]
	s_and_b64 s[16:17], s[12:13], s[16:17]
	s_and_b64 s[14:15], s[10:11], s[14:15]
	.loc	2 152 18 is_stmt 1              ; standard.py:152:18 @[ standard.py:160:59 @[ standard.py:181:58 @[ max_aot.py:48:38 ] ] ]
	v_cmp_gt_f32_e64 s[10:11], v38, v41
	v_cmp_gt_f32_e64 s[12:13], v22, v40
	.loc	2 152 28 is_stmt 0              ; standard.py:152:28 @[ standard.py:160:59 @[ standard.py:181:58 @[ max_aot.py:48:38 ] ] ]
	s_or_b64 s[10:11], s[10:11], s[16:17]
	s_or_b64 s[12:13], s[12:13], s[14:15]
	.loc	2 154 35 is_stmt 1              ; standard.py:154:35 @[ standard.py:160:59 @[ standard.py:181:58 @[ max_aot.py:48:38 ] ] ]
	v_cndmask_b32_e64 v36, v36, v21, s[10:11]
	.loc	2 153 35                        ; standard.py:153:35 @[ standard.py:160:59 @[ standard.py:181:58 @[ max_aot.py:48:38 ] ] ]
	v_cndmask_b32_e64 v21, v40, v22, s[12:13]
	v_cndmask_b32_e64 v22, v41, v38, s[10:11]
	.loc	2 154 35                        ; standard.py:154:35 @[ standard.py:160:59 @[ standard.py:181:58 @[ max_aot.py:48:38 ] ] ]
	v_cndmask_b32_e64 v41, v43, v24, s[12:13]
	.loc	2 152 28                        ; standard.py:152:28 @[ standard.py:160:59 @[ standard.py:181:58 @[ max_aot.py:48:38 ] ] ]
	v_cmp_ge_f32_e64 s[10:11], v23, v42
	v_cmp_ge_f32_e64 s[12:13], v34, v35
.Ltmp21:
	.loc	2 181 58                        ; standard.py:181:58 @[ max_aot.py:48:38 ]
	v_mov_b32_e32 v38, v22
.Ltmp22:
	.loc	2 153 35                        ; standard.py:153:35 @[ standard.py:160:59 @[ standard.py:181:58 @[ max_aot.py:48:38 ] ] ]
	v_cndmask_b32_e64 v23, v42, v23, s[10:11]
	v_cndmask_b32_e64 v24, v35, v34, s[12:13]
	.loc	2 154 35                        ; standard.py:154:35 @[ standard.py:160:59 @[ standard.py:181:58 @[ max_aot.py:48:38 ] ] ]
	v_cndmask_b32_e64 v34, v15, v1, s[10:11]
	v_cndmask_b32_e64 v35, v16, v14, s[12:13]
	.loc	2 152 28                        ; standard.py:152:28 @[ standard.py:160:59 @[ standard.py:181:58 @[ max_aot.py:48:38 ] ] ]
	v_cmp_ge_f32_e64 s[10:11], v23, v46
	v_cmp_ge_f32_e64 s[12:13], v24, v39
.Ltmp23:
	.loc	2 181 58                        ; standard.py:181:58 @[ max_aot.py:48:38 ]
	v_mov_b32_e32 v40, v36
.Ltmp24:
	.loc	2 153 35                        ; standard.py:153:35 @[ standard.py:160:59 @[ standard.py:181:58 @[ max_aot.py:48:38 ] ] ]
	v_cndmask_b32_e64 v23, v46, v23, s[10:11]
	v_cndmask_b32_e64 v24, v39, v24, s[12:13]
	.loc	2 154 35                        ; standard.py:154:35 @[ standard.py:160:59 @[ standard.py:181:58 @[ max_aot.py:48:38 ] ] ]
	v_cndmask_b32_e64 v35, v18, v35, s[12:13]
	v_cndmask_b32_e64 v34, v17, v34, s[10:11]
	.loc	2 152 28                        ; standard.py:152:28 @[ standard.py:160:59 @[ standard.py:181:58 @[ max_aot.py:48:38 ] ] ]
	v_cmp_ge_f32_e64 s[10:11], v23, v44
	v_cmp_ge_f32_e64 s[12:13], v24, v37
.Ltmp25:
	.loc	2 181 58                        ; standard.py:181:58 @[ max_aot.py:48:38 ]
	v_mov_b32_e32 v43, v21
.Ltmp26:
	.loc	2 153 35                        ; standard.py:153:35 @[ standard.py:160:59 @[ standard.py:181:58 @[ max_aot.py:48:38 ] ] ]
	v_cndmask_b32_e64 v23, v44, v23, s[10:11]
	v_cndmask_b32_e64 v24, v37, v24, s[12:13]
	.loc	2 154 35                        ; standard.py:154:35 @[ standard.py:160:59 @[ standard.py:181:58 @[ max_aot.py:48:38 ] ] ]
	v_cndmask_b32_e64 v37, v19, v34, s[10:11]
	v_cndmask_b32_e64 v35, v20, v35, s[12:13]
.Ltmp27:
	.loc	2 181 58                        ; standard.py:181:58 @[ max_aot.py:48:38 ]
	ds_bpermute_b32 v39, v26, v24
	ds_bpermute_b32 v42, v26, v23
	;; [unrolled: 1-line block ×4, first 2 shown]
	v_mov_b32_e32 v34, v41
.Ltmp28:
	.loc	2 149 24                        ; standard.py:149:24 @[ standard.py:160:59 @[ standard.py:181:58 @[ max_aot.py:48:38 ] ] ]
	s_waitcnt lgkmcnt(3)
	v_cmp_eq_f32_e64 s[10:11], v24, v39
	s_waitcnt lgkmcnt(2)
	v_cmp_eq_f32_e64 s[12:13], v23, v42
	.loc	2 149 44 is_stmt 0              ; standard.py:149:44 @[ standard.py:160:59 @[ standard.py:181:58 @[ max_aot.py:48:38 ] ] ]
	s_waitcnt lgkmcnt(1)
	v_cmp_lt_i32_e64 s[14:15], v35, v44
	s_waitcnt lgkmcnt(0)
	v_cmp_lt_i32_e64 s[16:17], v37, v45
	.loc	2 149 35                        ; standard.py:149:35 @[ standard.py:160:59 @[ standard.py:181:58 @[ max_aot.py:48:38 ] ] ]
	s_and_b64 s[16:17], s[12:13], s[16:17]
	s_and_b64 s[14:15], s[10:11], s[14:15]
	.loc	2 152 18 is_stmt 1              ; standard.py:152:18 @[ standard.py:160:59 @[ standard.py:181:58 @[ max_aot.py:48:38 ] ] ]
	v_cmp_gt_f32_e64 s[10:11], v23, v42
	v_cmp_gt_f32_e64 s[12:13], v24, v39
	.loc	2 152 28 is_stmt 0              ; standard.py:152:28 @[ standard.py:160:59 @[ standard.py:181:58 @[ max_aot.py:48:38 ] ] ]
	s_or_b64 s[10:11], s[10:11], s[16:17]
	s_or_b64 s[12:13], s[12:13], s[14:15]
	.loc	2 154 35 is_stmt 1              ; standard.py:154:35 @[ standard.py:160:59 @[ standard.py:181:58 @[ max_aot.py:48:38 ] ] ]
	v_cndmask_b32_e64 v37, v45, v37, s[10:11]
	v_cndmask_b32_e64 v35, v44, v35, s[12:13]
	.loc	2 153 35                        ; standard.py:153:35 @[ standard.py:160:59 @[ standard.py:181:58 @[ max_aot.py:48:38 ] ] ]
	v_cndmask_b32_e64 v23, v42, v23, s[10:11]
	v_cndmask_b32_e64 v24, v39, v24, s[12:13]
.Ltmp29:
	.loc	2 181 58                        ; standard.py:181:58 @[ max_aot.py:48:38 ]
	ds_swizzle_b32 v44, v35 offset:swizzle(SWAP,16)
	ds_swizzle_b32 v45, v37 offset:swizzle(SWAP,16)
	;; [unrolled: 1-line block ×4, first 2 shown]
	v_mov_b32_dpp v38, v38 quad_perm:[1,0,3,2] row_mask:0xf bank_mask:0xf
.Ltmp30:
	.loc	2 149 44                        ; standard.py:149:44 @[ standard.py:160:59 @[ standard.py:181:58 @[ max_aot.py:48:38 ] ] ]
	s_waitcnt lgkmcnt(3)
	v_cmp_lt_i32_e64 s[10:11], v35, v44
	s_waitcnt lgkmcnt(2)
	v_cmp_lt_i32_e64 s[12:13], v37, v45
	.loc	2 149 24 is_stmt 0              ; standard.py:149:24 @[ standard.py:160:59 @[ standard.py:181:58 @[ max_aot.py:48:38 ] ] ]
	s_waitcnt lgkmcnt(1)
	v_cmp_eq_f32_e64 s[14:15], v24, v39
	s_waitcnt lgkmcnt(0)
	v_cmp_eq_f32_e64 s[16:17], v23, v42
	.loc	2 149 35                        ; standard.py:149:35 @[ standard.py:160:59 @[ standard.py:181:58 @[ max_aot.py:48:38 ] ] ]
	s_and_b64 s[16:17], s[16:17], s[12:13]
	s_and_b64 s[14:15], s[14:15], s[10:11]
	.loc	2 152 18 is_stmt 1              ; standard.py:152:18 @[ standard.py:160:59 @[ standard.py:181:58 @[ max_aot.py:48:38 ] ] ]
	v_cmp_gt_f32_e64 s[10:11], v23, v42
	v_cmp_gt_f32_e64 s[12:13], v24, v39
	.loc	2 152 28 is_stmt 0              ; standard.py:152:28 @[ standard.py:160:59 @[ standard.py:181:58 @[ max_aot.py:48:38 ] ] ]
	s_or_b64 s[10:11], s[10:11], s[16:17]
	s_or_b64 s[12:13], s[12:13], s[14:15]
	.loc	2 153 35 is_stmt 1              ; standard.py:153:35 @[ standard.py:160:59 @[ standard.py:181:58 @[ max_aot.py:48:38 ] ] ]
	v_cndmask_b32_e64 v23, v42, v23, s[10:11]
	v_cndmask_b32_e64 v24, v39, v24, s[12:13]
	.loc	2 154 35                        ; standard.py:154:35 @[ standard.py:160:59 @[ standard.py:181:58 @[ max_aot.py:48:38 ] ] ]
	v_cndmask_b32_e64 v37, v45, v37, s[10:11]
	v_cndmask_b32_e64 v35, v44, v35, s[12:13]
.Ltmp31:
	.loc	2 181 58                        ; standard.py:181:58 @[ max_aot.py:48:38 ]
	v_mov_b32_e32 v39, v24
	v_mov_b32_e32 v42, v35
	;; [unrolled: 1-line block ×4, first 2 shown]
	v_mov_b32_dpp v39, v39 row_shr:8 row_mask:0xf bank_mask:0xc
	v_mov_b32_dpp v42, v42 row_shr:8 row_mask:0xf bank_mask:0xc
	;; [unrolled: 1-line block ×4, first 2 shown]
	v_mov_b32_dpp v39, v24 row_shl:8 row_mask:0xf bank_mask:0x3
	v_mov_b32_dpp v42, v35 row_shl:8 row_mask:0xf bank_mask:0x3
	;; [unrolled: 1-line block ×4, first 2 shown]
.Ltmp32:
	.loc	2 149 24                        ; standard.py:149:24 @[ standard.py:160:59 @[ standard.py:181:58 @[ max_aot.py:48:38 ] ] ]
	v_cmp_eq_f32_e64 s[10:11], v24, v39
	v_cmp_eq_f32_e64 s[12:13], v23, v44
	.loc	2 149 44 is_stmt 0              ; standard.py:149:44 @[ standard.py:160:59 @[ standard.py:181:58 @[ max_aot.py:48:38 ] ] ]
	v_cmp_lt_i32_e64 s[14:15], v35, v42
	v_cmp_lt_i32_e64 s[16:17], v37, v45
	.loc	2 149 35                        ; standard.py:149:35 @[ standard.py:160:59 @[ standard.py:181:58 @[ max_aot.py:48:38 ] ] ]
	s_and_b64 s[16:17], s[12:13], s[16:17]
	s_and_b64 s[14:15], s[10:11], s[14:15]
	.loc	2 152 18 is_stmt 1              ; standard.py:152:18 @[ standard.py:160:59 @[ standard.py:181:58 @[ max_aot.py:48:38 ] ] ]
	v_cmp_gt_f32_e64 s[10:11], v23, v44
	v_cmp_gt_f32_e64 s[12:13], v24, v39
	.loc	2 152 28 is_stmt 0              ; standard.py:152:28 @[ standard.py:160:59 @[ standard.py:181:58 @[ max_aot.py:48:38 ] ] ]
	s_or_b64 s[10:11], s[10:11], s[16:17]
	s_or_b64 s[12:13], s[12:13], s[14:15]
	.loc	2 153 35 is_stmt 1              ; standard.py:153:35 @[ standard.py:160:59 @[ standard.py:181:58 @[ max_aot.py:48:38 ] ] ]
	v_cndmask_b32_e64 v23, v44, v23, s[10:11]
	v_cndmask_b32_e64 v24, v39, v24, s[12:13]
	.loc	2 154 35                        ; standard.py:154:35 @[ standard.py:160:59 @[ standard.py:181:58 @[ max_aot.py:48:38 ] ] ]
	v_cndmask_b32_e64 v37, v45, v37, s[10:11]
	v_cndmask_b32_e64 v35, v42, v35, s[12:13]
.Ltmp33:
	.loc	2 181 58                        ; standard.py:181:58 @[ max_aot.py:48:38 ]
	v_mov_b32_e32 v39, v24
	v_mov_b32_e32 v42, v35
	;; [unrolled: 1-line block ×4, first 2 shown]
	v_mov_b32_dpp v39, v39 row_shr:4 row_mask:0xf bank_mask:0xa
	v_mov_b32_dpp v42, v42 row_shr:4 row_mask:0xf bank_mask:0xa
	;; [unrolled: 1-line block ×4, first 2 shown]
	v_mov_b32_dpp v39, v24 row_shl:4 row_mask:0xf bank_mask:0x5
	v_mov_b32_dpp v42, v35 row_shl:4 row_mask:0xf bank_mask:0x5
	;; [unrolled: 1-line block ×4, first 2 shown]
.Ltmp34:
	.loc	2 149 24                        ; standard.py:149:24 @[ standard.py:160:59 @[ standard.py:181:58 @[ max_aot.py:48:38 ] ] ]
	v_cmp_eq_f32_e64 s[10:11], v24, v39
	v_cmp_eq_f32_e64 s[12:13], v23, v44
	.loc	2 149 44 is_stmt 0              ; standard.py:149:44 @[ standard.py:160:59 @[ standard.py:181:58 @[ max_aot.py:48:38 ] ] ]
	v_cmp_lt_i32_e64 s[14:15], v35, v42
	v_cmp_lt_i32_e64 s[16:17], v37, v45
	.loc	2 149 35                        ; standard.py:149:35 @[ standard.py:160:59 @[ standard.py:181:58 @[ max_aot.py:48:38 ] ] ]
	s_and_b64 s[16:17], s[12:13], s[16:17]
	s_and_b64 s[14:15], s[10:11], s[14:15]
	.loc	2 152 18 is_stmt 1              ; standard.py:152:18 @[ standard.py:160:59 @[ standard.py:181:58 @[ max_aot.py:48:38 ] ] ]
	v_cmp_gt_f32_e64 s[10:11], v23, v44
	v_cmp_gt_f32_e64 s[12:13], v24, v39
	.loc	2 152 28 is_stmt 0              ; standard.py:152:28 @[ standard.py:160:59 @[ standard.py:181:58 @[ max_aot.py:48:38 ] ] ]
	s_or_b64 s[10:11], s[10:11], s[16:17]
	s_or_b64 s[12:13], s[12:13], s[14:15]
	.loc	2 153 35 is_stmt 1              ; standard.py:153:35 @[ standard.py:160:59 @[ standard.py:181:58 @[ max_aot.py:48:38 ] ] ]
	v_cndmask_b32_e64 v23, v44, v23, s[10:11]
	v_cndmask_b32_e64 v24, v39, v24, s[12:13]
	.loc	2 154 35                        ; standard.py:154:35 @[ standard.py:160:59 @[ standard.py:181:58 @[ max_aot.py:48:38 ] ] ]
	v_cndmask_b32_e64 v44, v45, v37, s[10:11]
	v_cndmask_b32_e64 v35, v42, v35, s[12:13]
.Ltmp35:
	.loc	2 181 58                        ; standard.py:181:58 @[ max_aot.py:48:38 ]
	v_mov_b32_e32 v39, v24
	v_mov_b32_e32 v37, v35
	;; [unrolled: 1-line block ×4, first 2 shown]
	v_mov_b32_dpp v39, v39 quad_perm:[2,3,0,1] row_mask:0xf bank_mask:0xf
	v_mov_b32_dpp v37, v37 quad_perm:[2,3,0,1] row_mask:0xf bank_mask:0xf
	;; [unrolled: 1-line block ×4, first 2 shown]
.Ltmp36:
	.loc	2 149 24                        ; standard.py:149:24 @[ standard.py:160:59 @[ standard.py:181:58 @[ max_aot.py:48:38 ] ] ]
	v_cmp_eq_f32_e64 s[10:11], v23, v42
	v_cmp_eq_f32_e64 s[12:13], v24, v39
	.loc	2 149 44 is_stmt 0              ; standard.py:149:44 @[ standard.py:160:59 @[ standard.py:181:58 @[ max_aot.py:48:38 ] ] ]
	v_cmp_lt_i32_e64 s[14:15], v44, v45
	v_cmp_lt_i32_e64 s[16:17], v35, v37
	.loc	2 149 35                        ; standard.py:149:35 @[ standard.py:160:59 @[ standard.py:181:58 @[ max_aot.py:48:38 ] ] ]
	s_and_b64 s[16:17], s[12:13], s[16:17]
	s_and_b64 s[14:15], s[10:11], s[14:15]
	.loc	2 152 18 is_stmt 1              ; standard.py:152:18 @[ standard.py:160:59 @[ standard.py:181:58 @[ max_aot.py:48:38 ] ] ]
	v_cmp_gt_f32_e64 s[10:11], v24, v39
	v_cmp_gt_f32_e64 s[12:13], v23, v42
	.loc	2 152 28 is_stmt 0              ; standard.py:152:28 @[ standard.py:160:59 @[ standard.py:181:58 @[ max_aot.py:48:38 ] ] ]
	s_or_b64 s[10:11], s[10:11], s[16:17]
	s_or_b64 s[12:13], s[12:13], s[14:15]
	.loc	2 154 35 is_stmt 1              ; standard.py:154:35 @[ standard.py:160:59 @[ standard.py:181:58 @[ max_aot.py:48:38 ] ] ]
	v_cndmask_b32_e64 v35, v37, v35, s[10:11]
	.loc	2 153 35                        ; standard.py:153:35 @[ standard.py:160:59 @[ standard.py:181:58 @[ max_aot.py:48:38 ] ] ]
	v_cndmask_b32_e64 v23, v42, v23, s[12:13]
	v_cndmask_b32_e64 v24, v39, v24, s[10:11]
	.loc	2 154 35                        ; standard.py:154:35 @[ standard.py:160:59 @[ standard.py:181:58 @[ max_aot.py:48:38 ] ] ]
	v_cndmask_b32_e64 v42, v45, v44, s[12:13]
.Ltmp37:
	.loc	2 181 58                        ; standard.py:181:58 @[ max_aot.py:48:38 ]
	v_mov_b32_e32 v37, v24
	v_mov_b32_e32 v39, v35
	;; [unrolled: 1-line block ×4, first 2 shown]
	v_mov_b32_dpp v40, v40 quad_perm:[1,0,3,2] row_mask:0xf bank_mask:0xf
	v_mov_b32_dpp v43, v43 quad_perm:[1,0,3,2] row_mask:0xf bank_mask:0xf
	;; [unrolled: 1-line block ×7, first 2 shown]
	s_and_saveexec_b64 s[30:31], vcc
	s_cbranch_execz .LBB0_37
; %bb.36:                               ; %.critedge
                                        ;   in Loop: Header=BB0_3 Depth=1
.Ltmp38:
	.loc	2 149 44                        ; standard.py:149:44 @[ standard.py:160:59 @[ standard.py:181:58 @[ max_aot.py:48:38 ] ] ]
	v_cmp_lt_i32_e64 s[12:13], v42, v45
	.loc	2 149 24 is_stmt 0              ; standard.py:149:24 @[ standard.py:160:59 @[ standard.py:181:58 @[ max_aot.py:48:38 ] ] ]
	v_cmp_eq_f32_e64 s[18:19], v23, v44
	.loc	2 152 18 is_stmt 1              ; standard.py:152:18 @[ standard.py:160:59 @[ standard.py:181:58 @[ max_aot.py:48:38 ] ] ]
	v_cmp_gt_f32_e64 s[10:11], v23, v44
	.loc	2 149 35                        ; standard.py:149:35 @[ standard.py:160:59 @[ standard.py:181:58 @[ max_aot.py:48:38 ] ] ]
	s_and_b64 s[12:13], s[18:19], s[12:13]
	.loc	2 152 28                        ; standard.py:152:28 @[ standard.py:160:59 @[ standard.py:181:58 @[ max_aot.py:48:38 ] ] ]
	s_or_b64 s[10:11], s[10:11], s[12:13]
	.loc	2 149 24                        ; standard.py:149:24 @[ standard.py:160:59 @[ standard.py:181:58 @[ max_aot.py:48:38 ] ] ]
	v_cmp_eq_f32_e64 s[16:17], v24, v37
	.loc	2 154 35                        ; standard.py:154:35 @[ standard.py:160:59 @[ standard.py:181:58 @[ max_aot.py:48:38 ] ] ]
	v_cndmask_b32_e64 v42, v45, v42, s[10:11]
	.loc	2 153 35                        ; standard.py:153:35 @[ standard.py:160:59 @[ standard.py:181:58 @[ max_aot.py:48:38 ] ] ]
	v_cndmask_b32_e64 v23, v44, v23, s[10:11]
	.loc	2 149 44                        ; standard.py:149:44 @[ standard.py:160:59 @[ standard.py:181:58 @[ max_aot.py:48:38 ] ] ]
	v_cmp_lt_i32_e64 s[10:11], v35, v39
	.loc	2 152 18                        ; standard.py:152:18 @[ standard.py:160:59 @[ standard.py:181:58 @[ max_aot.py:48:38 ] ] ]
	v_cmp_gt_f32_e64 s[14:15], v24, v37
	.loc	2 149 35                        ; standard.py:149:35 @[ standard.py:160:59 @[ standard.py:181:58 @[ max_aot.py:48:38 ] ] ]
	s_and_b64 s[10:11], s[16:17], s[10:11]
	.loc	2 152 28                        ; standard.py:152:28 @[ standard.py:160:59 @[ standard.py:181:58 @[ max_aot.py:48:38 ] ] ]
	s_or_b64 s[10:11], s[14:15], s[10:11]
	.loc	2 149 44                        ; standard.py:149:44 @[ standard.py:160:59 @[ standard.py:181:58 @[ max_aot.py:48:38 ] ] ]
	v_cmp_lt_i32_e64 s[12:13], v41, v34
	.loc	2 149 24 is_stmt 0              ; standard.py:149:24 @[ standard.py:160:59 @[ standard.py:181:58 @[ max_aot.py:48:38 ] ] ]
	v_cmp_eq_f32_e64 s[18:19], v21, v43
	.loc	2 154 35 is_stmt 1              ; standard.py:154:35 @[ standard.py:160:59 @[ standard.py:181:58 @[ max_aot.py:48:38 ] ] ]
	v_cndmask_b32_e64 v35, v39, v35, s[10:11]
	.loc	2 153 35                        ; standard.py:153:35 @[ standard.py:160:59 @[ standard.py:181:58 @[ max_aot.py:48:38 ] ] ]
	v_cndmask_b32_e64 v24, v37, v24, s[10:11]
	.loc	2 152 18                        ; standard.py:152:18 @[ standard.py:160:59 @[ standard.py:181:58 @[ max_aot.py:48:38 ] ] ]
	v_cmp_gt_f32_e64 s[10:11], v21, v43
	.loc	2 149 35                        ; standard.py:149:35 @[ standard.py:160:59 @[ standard.py:181:58 @[ max_aot.py:48:38 ] ] ]
	s_and_b64 s[12:13], s[18:19], s[12:13]
	.loc	2 152 28                        ; standard.py:152:28 @[ standard.py:160:59 @[ standard.py:181:58 @[ max_aot.py:48:38 ] ] ]
	s_or_b64 s[10:11], s[10:11], s[12:13]
	.loc	2 149 24                        ; standard.py:149:24 @[ standard.py:160:59 @[ standard.py:181:58 @[ max_aot.py:48:38 ] ] ]
	v_cmp_eq_f32_e64 s[16:17], v22, v38
	.loc	2 154 35                        ; standard.py:154:35 @[ standard.py:160:59 @[ standard.py:181:58 @[ max_aot.py:48:38 ] ] ]
	v_cndmask_b32_e64 v34, v34, v41, s[10:11]
	.loc	2 153 35                        ; standard.py:153:35 @[ standard.py:160:59 @[ standard.py:181:58 @[ max_aot.py:48:38 ] ] ]
	v_cndmask_b32_e64 v21, v43, v21, s[10:11]
	.loc	2 149 44                        ; standard.py:149:44 @[ standard.py:160:59 @[ standard.py:181:58 @[ max_aot.py:48:38 ] ] ]
	v_cmp_lt_i32_e64 s[10:11], v36, v40
	.loc	2 152 18                        ; standard.py:152:18 @[ standard.py:160:59 @[ standard.py:181:58 @[ max_aot.py:48:38 ] ] ]
	v_cmp_gt_f32_e64 s[14:15], v22, v38
	.loc	2 149 35                        ; standard.py:149:35 @[ standard.py:160:59 @[ standard.py:181:58 @[ max_aot.py:48:38 ] ] ]
	s_and_b64 s[10:11], s[16:17], s[10:11]
	.loc	2 152 28                        ; standard.py:152:28 @[ standard.py:160:59 @[ standard.py:181:58 @[ max_aot.py:48:38 ] ] ]
	s_or_b64 s[10:11], s[14:15], s[10:11]
	.loc	2 153 35                        ; standard.py:153:35 @[ standard.py:160:59 @[ standard.py:181:58 @[ max_aot.py:48:38 ] ] ]
	v_cndmask_b32_e64 v22, v38, v22, s[10:11]
.Ltmp39:
	.loc	2 181 58                        ; standard.py:181:58 @[ max_aot.py:48:38 ]
	v_mov_b32_e32 v37, s36
.Ltmp40:
	.loc	2 154 35                        ; standard.py:154:35 @[ standard.py:160:59 @[ standard.py:181:58 @[ max_aot.py:48:38 ] ] ]
	v_cndmask_b32_e64 v36, v40, v36, s[10:11]
.Ltmp41:
	.loc	2 181 58                        ; standard.py:181:58 @[ max_aot.py:48:38 ]
	ds_write2_b32 v37, v22, v21 offset1:4
	ds_write2_b32 v37, v36, v34 offset0:16 offset1:20
	ds_write2_b32 v37, v24, v23 offset0:8 offset1:12
	ds_write2_b32 v37, v35, v42 offset0:24 offset1:28
.Ltmp42:
.LBB0_37:                               ; %.critedge6
                                        ;   in Loop: Header=BB0_3 Depth=1
	.loc	2 0 58 is_stmt 0                ; standard.py:0:58
	s_or_b64 exec, exec, s[30:31]
	.loc	1 48 38 is_stmt 1               ; max_aot.py:48:38
	v_mov_b32_e32 v21, 0
	v_mov_b32_e32 v22, v21
.Ltmp43:
	.loc	2 181 58                        ; standard.py:181:58 @[ max_aot.py:48:38 ]
	s_waitcnt lgkmcnt(0)
	s_barrier
	s_and_saveexec_b64 s[10:11], s[0:1]
; %bb.38:                               ;   in Loop: Header=BB0_3 Depth=1
	ds_read_b32 v22, v27
; %bb.39:                               ;   in Loop: Header=BB0_3 Depth=1
	.loc	2 0 58 is_stmt 0                ; standard.py:0:58
	s_or_b64 exec, exec, s[10:11]
	.loc	2 181 58                        ; standard.py:181:58 @[ max_aot.py:48:38 ]
	s_and_saveexec_b64 s[10:11], s[0:1]
; %bb.40:                               ;   in Loop: Header=BB0_3 Depth=1
	ds_read_b32 v21, v27 offset:64
; %bb.41:                               ;   in Loop: Header=BB0_3 Depth=1
	.loc	2 0 58                          ; standard.py:0:58
	s_or_b64 exec, exec, s[10:11]
	.loc	2 181 58                        ; standard.py:181:58 @[ max_aot.py:48:38 ]
	s_waitcnt lgkmcnt(0)
	v_mov_b32_e32 v23, v22
	v_mov_b32_e32 v24, v21
	s_nop 0
	v_mov_b32_dpp v23, v23 quad_perm:[2,3,0,1] row_mask:0xf bank_mask:0xf
	v_mov_b32_dpp v24, v24 quad_perm:[2,3,0,1] row_mask:0xf bank_mask:0xf
.Ltmp44:
	.loc	2 149 24 is_stmt 1              ; standard.py:149:24 @[ standard.py:160:59 @[ standard.py:181:58 @[ max_aot.py:48:38 ] ] ]
	v_cmp_eq_f32_e64 s[10:11], v22, v23
	.loc	2 149 44 is_stmt 0              ; standard.py:149:44 @[ standard.py:160:59 @[ standard.py:181:58 @[ max_aot.py:48:38 ] ] ]
	v_cmp_lt_i32_e64 s[12:13], v21, v24
	.loc	2 149 35                        ; standard.py:149:35 @[ standard.py:160:59 @[ standard.py:181:58 @[ max_aot.py:48:38 ] ] ]
	s_and_b64 s[12:13], s[10:11], s[12:13]
	.loc	2 152 18 is_stmt 1              ; standard.py:152:18 @[ standard.py:160:59 @[ standard.py:181:58 @[ max_aot.py:48:38 ] ] ]
	v_cmp_gt_f32_e64 s[10:11], v22, v23
	.loc	2 152 28 is_stmt 0              ; standard.py:152:28 @[ standard.py:160:59 @[ standard.py:181:58 @[ max_aot.py:48:38 ] ] ]
	s_or_b64 s[10:11], s[10:11], s[12:13]
	.loc	2 153 35 is_stmt 1              ; standard.py:153:35 @[ standard.py:160:59 @[ standard.py:181:58 @[ max_aot.py:48:38 ] ] ]
	s_nop 0
	v_cndmask_b32_e64 v22, v23, v22, s[10:11]
	.loc	2 154 35                        ; standard.py:154:35 @[ standard.py:160:59 @[ standard.py:181:58 @[ max_aot.py:48:38 ] ] ]
	v_cndmask_b32_e64 v21, v24, v21, s[10:11]
.Ltmp45:
	.loc	2 181 58                        ; standard.py:181:58 @[ max_aot.py:48:38 ]
	v_mov_b32_e32 v23, v22
	v_mov_b32_e32 v24, v21
	s_nop 0
	v_mov_b32_dpp v23, v23 quad_perm:[1,0,3,2] row_mask:0xf bank_mask:0xf
	v_mov_b32_dpp v24, v24 quad_perm:[1,0,3,2] row_mask:0xf bank_mask:0xf
	s_and_saveexec_b64 s[16:17], s[28:29]
	s_cbranch_execz .LBB0_2
; %bb.42:                               ;   in Loop: Header=BB0_3 Depth=1
.Ltmp46:
	.loc	2 149 24                        ; standard.py:149:24 @[ standard.py:160:59 @[ standard.py:181:58 @[ max_aot.py:48:38 ] ] ]
	v_cmp_eq_f32_e64 s[12:13], v22, v23
	.loc	2 149 44 is_stmt 0              ; standard.py:149:44 @[ standard.py:160:59 @[ standard.py:181:58 @[ max_aot.py:48:38 ] ] ]
	v_cmp_lt_i32_e64 s[14:15], v21, v24
	.loc	2 152 18 is_stmt 1              ; standard.py:152:18 @[ standard.py:160:59 @[ standard.py:181:58 @[ max_aot.py:48:38 ] ] ]
	v_cmp_gt_f32_e64 s[10:11], v22, v23
	.loc	2 149 35                        ; standard.py:149:35 @[ standard.py:160:59 @[ standard.py:181:58 @[ max_aot.py:48:38 ] ] ]
	s_and_b64 s[12:13], s[12:13], s[14:15]
	.loc	2 152 28                        ; standard.py:152:28 @[ standard.py:160:59 @[ standard.py:181:58 @[ max_aot.py:48:38 ] ] ]
	s_or_b64 s[10:11], s[10:11], s[12:13]
	.loc	2 154 35                        ; standard.py:154:35 @[ standard.py:160:59 @[ standard.py:181:58 @[ max_aot.py:48:38 ] ] ]
	v_cndmask_b32_e64 v21, v24, v21, s[10:11]
	.loc	2 153 35                        ; standard.py:153:35 @[ standard.py:160:59 @[ standard.py:181:58 @[ max_aot.py:48:38 ] ] ]
	v_cndmask_b32_e64 v22, v23, v22, s[10:11]
.Ltmp47:
	.loc	2 181 58                        ; standard.py:181:58 @[ max_aot.py:48:38 ]
	ds_write2_b32 v27, v22, v21 offset1:16
	s_branch .LBB0_2
.Ltmp48:
.LBB0_43:
	.loc	2 0 58 is_stmt 0                ; standard.py:0:58
	v_mov_b64_e32 v[4:5], 0
	v_mov_b64_e32 v[2:3], 0
	;; [unrolled: 1-line block ×4, first 2 shown]
	v_mov_b32_e32 v12, 0xff800000
	v_mov_b32_e32 v11, 0xff800000
	;; [unrolled: 1-line block ×3, first 2 shown]
.LBB0_44:                               ; %._crit_edge
	.loc	1 34 33 is_stmt 1               ; max_aot.py:34:33
	v_or_b32_e32 v14, s34, v25
	.loc	1 57 29                         ; max_aot.py:57:29
	v_and_or_b32 v0, v0, 60, s33
	.loc	1 52 23                         ; max_aot.py:52:23
	v_cmp_gt_i32_e32 vcc, s8, v14
	.loc	1 57 29                         ; max_aot.py:57:29
	v_cmp_eq_u32_e64 s[0:1], 0, v0
	.loc	1 55 33                         ; max_aot.py:55:33
	v_ashrrev_i32_e32 v15, 31, v14
	.loc	1 57 29                         ; max_aot.py:57:29
	v_mov_b32_e32 v1, 0
	s_and_b64 s[0:1], vcc, s[0:1]
	s_waitcnt lgkmcnt(0)
	s_barrier
	ds_write_b128 v1, v[10:13]
	s_waitcnt lgkmcnt(0)
	s_barrier
	s_and_saveexec_b64 s[2:3], s[0:1]
	s_cbranch_execz .LBB0_46
; %bb.45:
	.loc	1 0 29 is_stmt 0                ; max_aot.py:0:29
	v_lshl_add_u32 v0, v25, 2, 0
	.loc	1 57 29                         ; max_aot.py:57:29
	ds_read_b32 v0, v0
	v_lshl_add_u64 v[10:11], v[14:15], 2, s[4:5]
	s_waitcnt lgkmcnt(0)
	global_store_dword v[10:11], v0, off
.LBB0_46:
	.loc	1 0 29                          ; max_aot.py:0:29
	s_or_b64 exec, exec, s[2:3]
	.loc	1 58 29 is_stmt 1               ; max_aot.py:58:29
	s_waitcnt lgkmcnt(0)
	s_barrier
	ds_write_b128 v1, v[6:9]
	ds_write_b128 v1, v[2:5] offset:16
	s_waitcnt lgkmcnt(0)
	s_barrier
	s_and_saveexec_b64 s[2:3], s[0:1]
	s_cbranch_execz .LBB0_48
; %bb.47:
	.loc	1 0 29 is_stmt 0                ; max_aot.py:0:29
	v_lshl_add_u32 v0, v25, 3, 0
	.loc	1 58 29                         ; max_aot.py:58:29
	ds_read_b64 v[2:3], v0
	.loc	1 55 33 is_stmt 1               ; max_aot.py:55:33
	v_lshl_add_u64 v[0:1], v[14:15], 3, s[6:7]
	.loc	1 58 29                         ; max_aot.py:58:29
	s_waitcnt lgkmcnt(0)
	global_store_dwordx2 v[0:1], v[2:3], off
.LBB0_48:
	.loc	1 58 4 is_stmt 0                ; max_aot.py:58:4
	s_endpgm
.Ltmp49:
	.section	.rodata,"a",@progbits
	.p2align	6, 0x0
	.amdhsa_kernel max_kernel
		.amdhsa_group_segment_fixed_size 0
		.amdhsa_private_segment_fixed_size 0
		.amdhsa_kernarg_size 48
		.amdhsa_user_sgpr_count 14
		.amdhsa_user_sgpr_dispatch_ptr 0
		.amdhsa_user_sgpr_queue_ptr 0
		.amdhsa_user_sgpr_kernarg_segment_ptr 1
		.amdhsa_user_sgpr_dispatch_id 0
		.amdhsa_user_sgpr_kernarg_preload_length 12
		.amdhsa_user_sgpr_kernarg_preload_offset 0
		.amdhsa_user_sgpr_private_segment_size 0
		.amdhsa_uses_dynamic_stack 0
		.amdhsa_enable_private_segment 0
		.amdhsa_system_sgpr_workgroup_id_x 1
		.amdhsa_system_sgpr_workgroup_id_y 0
		.amdhsa_system_sgpr_workgroup_id_z 0
		.amdhsa_system_sgpr_workgroup_info 0
		.amdhsa_system_vgpr_workitem_id 0
		.amdhsa_next_free_vgpr 50
		.amdhsa_next_free_sgpr 37
		.amdhsa_accum_offset 52
		.amdhsa_reserve_vcc 1
		.amdhsa_reserve_xnack_mask 1
		.amdhsa_float_round_mode_32 0
		.amdhsa_float_round_mode_16_64 0
		.amdhsa_float_denorm_mode_32 3
		.amdhsa_float_denorm_mode_16_64 3
		.amdhsa_dx10_clamp 1
		.amdhsa_ieee_mode 1
		.amdhsa_fp16_overflow 0
		.amdhsa_tg_split 0
		.amdhsa_exception_fp_ieee_invalid_op 0
		.amdhsa_exception_fp_denorm_src 0
		.amdhsa_exception_fp_ieee_div_zero 0
		.amdhsa_exception_fp_ieee_overflow 0
		.amdhsa_exception_fp_ieee_underflow 0
		.amdhsa_exception_fp_ieee_inexact 0
		.amdhsa_exception_int_div_zero 0
	.end_amdhsa_kernel
	.text
.Lfunc_end0:
	.size	max_kernel, .Lfunc_end0-max_kernel
	.cfi_endproc
                                        ; -- End function
	.set max_kernel.num_vgpr, 50
	.set max_kernel.num_agpr, 0
	.set max_kernel.numbered_sgpr, 37
	.set max_kernel.num_named_barrier, 0
	.set max_kernel.private_seg_size, 0
	.set max_kernel.uses_vcc, 1
	.set max_kernel.uses_flat_scratch, 0
	.set max_kernel.has_dyn_sized_stack, 0
	.set max_kernel.has_recursion, 0
	.set max_kernel.has_indirect_call, 0
	.section	.AMDGPU.csdata,"",@progbits
; Kernel info:
; codeLenInByte = 4272
; TotalNumSgprs: 43
; NumVgprs: 50
; NumAgprs: 0
; TotalNumVgprs: 50
; ScratchSize: 0
; MemoryBound: 0
; FloatMode: 240
; IeeeMode: 1
; LDSByteSize: 0 bytes/workgroup (compile time only)
; SGPRBlocks: 5
; VGPRBlocks: 6
; NumSGPRsForWavesPerEU: 43
; NumVGPRsForWavesPerEU: 50
; AccumOffset: 52
; Occupancy: 8
; WaveLimiterHint : 0
; COMPUTE_PGM_RSRC2:SCRATCH_EN: 0
; COMPUTE_PGM_RSRC2:USER_SGPR: 14
; COMPUTE_PGM_RSRC2:TRAP_HANDLER: 0
; COMPUTE_PGM_RSRC2:TGID_X_EN: 1
; COMPUTE_PGM_RSRC2:TGID_Y_EN: 0
; COMPUTE_PGM_RSRC2:TGID_Z_EN: 0
; COMPUTE_PGM_RSRC2:TIDIG_COMP_CNT: 0
; COMPUTE_PGM_RSRC3_GFX90A:ACCUM_OFFSET: 12
; COMPUTE_PGM_RSRC3_GFX90A:TG_SPLIT: 0
	.text
	.p2alignl 6, 3212836864
	.fill 256, 4, 3212836864
	.section	.AMDGPU.gpr_maximums,"",@progbits
	.set amdgpu.max_num_vgpr, 0
	.set amdgpu.max_num_agpr, 0
	.set amdgpu.max_num_sgpr, 0
	.set amdgpu.max_num_named_barrier, 0
	.text
	.section	.debug_abbrev,"",@progbits
	.byte	1                               ; Abbreviation Code
	.byte	17                              ; DW_TAG_compile_unit
	.byte	1                               ; DW_CHILDREN_yes
	.byte	37                              ; DW_AT_producer
	.byte	14                              ; DW_FORM_strp
	.byte	19                              ; DW_AT_language
	.byte	5                               ; DW_FORM_data2
	.byte	3                               ; DW_AT_name
	.byte	14                              ; DW_FORM_strp
	.byte	16                              ; DW_AT_stmt_list
	.byte	23                              ; DW_FORM_sec_offset
	.byte	27                              ; DW_AT_comp_dir
	.byte	14                              ; DW_FORM_strp
	.byte	17                              ; DW_AT_low_pc
	.byte	1                               ; DW_FORM_addr
	.byte	18                              ; DW_AT_high_pc
	.byte	6                               ; DW_FORM_data4
	.byte	0                               ; EOM(1)
	.byte	0                               ; EOM(2)
	.byte	2                               ; Abbreviation Code
	.byte	46                              ; DW_TAG_subprogram
	.byte	0                               ; DW_CHILDREN_no
	.byte	3                               ; DW_AT_name
	.byte	14                              ; DW_FORM_strp
	.byte	32                              ; DW_AT_inline
	.byte	11                              ; DW_FORM_data1
	.byte	0                               ; EOM(1)
	.byte	0                               ; EOM(2)
	.byte	3                               ; Abbreviation Code
	.byte	46                              ; DW_TAG_subprogram
	.byte	1                               ; DW_CHILDREN_yes
	.byte	17                              ; DW_AT_low_pc
	.byte	1                               ; DW_FORM_addr
	.byte	18                              ; DW_AT_high_pc
	.byte	6                               ; DW_FORM_data4
	.byte	49                              ; DW_AT_abstract_origin
	.byte	19                              ; DW_FORM_ref4
	.byte	0                               ; EOM(1)
	.byte	0                               ; EOM(2)
	.byte	4                               ; Abbreviation Code
	.byte	29                              ; DW_TAG_inlined_subroutine
	.byte	1                               ; DW_CHILDREN_yes
	.byte	49                              ; DW_AT_abstract_origin
	.byte	19                              ; DW_FORM_ref4
	.byte	85                              ; DW_AT_ranges
	.byte	23                              ; DW_FORM_sec_offset
	.byte	88                              ; DW_AT_call_file
	.byte	11                              ; DW_FORM_data1
	.byte	89                              ; DW_AT_call_line
	.byte	11                              ; DW_FORM_data1
	.byte	87                              ; DW_AT_call_column
	.byte	11                              ; DW_FORM_data1
	.byte	0                               ; EOM(1)
	.byte	0                               ; EOM(2)
	.byte	5                               ; Abbreviation Code
	.byte	29                              ; DW_TAG_inlined_subroutine
	.byte	0                               ; DW_CHILDREN_no
	.byte	49                              ; DW_AT_abstract_origin
	.byte	19                              ; DW_FORM_ref4
	.byte	85                              ; DW_AT_ranges
	.byte	23                              ; DW_FORM_sec_offset
	.byte	88                              ; DW_AT_call_file
	.byte	11                              ; DW_FORM_data1
	.byte	89                              ; DW_AT_call_line
	.byte	11                              ; DW_FORM_data1
	.byte	87                              ; DW_AT_call_column
	.byte	11                              ; DW_FORM_data1
	.byte	0                               ; EOM(1)
	.byte	0                               ; EOM(2)
	;; [unrolled: 1-line block ×3, first 2 shown]
	.section	.debug_info,"",@progbits
.Lcu_begin0:
	.long	.Ldebug_info_end0-.Ldebug_info_start0 ; Length of Unit
.Ldebug_info_start0:
	.short	4                               ; DWARF version number
	.long	.debug_abbrev                   ; Offset Into Abbrev. Section
	.byte	8                               ; Address Size (in bytes)
	.byte	1                               ; Abbrev [1] 0xb:0x5e DW_TAG_compile_unit
	.long	.Linfo_string0                  ; DW_AT_producer
	.short	2                               ; DW_AT_language
	.long	.Linfo_string1                  ; DW_AT_name
	.long	.Lline_table_start0             ; DW_AT_stmt_list
	.long	.Linfo_string2                  ; DW_AT_comp_dir
	.quad	.Lfunc_begin0                   ; DW_AT_low_pc
	.long	.Lfunc_end0-.Lfunc_begin0       ; DW_AT_high_pc
	.byte	2                               ; Abbrev [2] 0x2a:0x6 DW_TAG_subprogram
	.long	.Linfo_string3                  ; DW_AT_name
	.byte	1                               ; DW_AT_inline
	.byte	3                               ; Abbrev [3] 0x30:0x38 DW_TAG_subprogram
	.quad	.Lfunc_begin0                   ; DW_AT_low_pc
	.long	.Lfunc_end0-.Lfunc_begin0       ; DW_AT_high_pc
	.long	42                              ; DW_AT_abstract_origin
	.byte	4                               ; Abbrev [4] 0x41:0x26 DW_TAG_inlined_subroutine
	.long	42                              ; DW_AT_abstract_origin
	.long	.Ldebug_ranges0                 ; DW_AT_ranges
	.byte	1                               ; DW_AT_call_file
	.byte	48                              ; DW_AT_call_line
	.byte	38                              ; DW_AT_call_column
	.byte	4                               ; Abbrev [4] 0x4d:0x19 DW_TAG_inlined_subroutine
	.long	42                              ; DW_AT_abstract_origin
	.long	.Ldebug_ranges1                 ; DW_AT_ranges
	.byte	2                               ; DW_AT_call_file
	.byte	181                             ; DW_AT_call_line
	.byte	58                              ; DW_AT_call_column
	.byte	5                               ; Abbrev [5] 0x59:0xc DW_TAG_inlined_subroutine
	.long	42                              ; DW_AT_abstract_origin
	.long	.Ldebug_ranges1                 ; DW_AT_ranges
	.byte	2                               ; DW_AT_call_file
	.byte	160                             ; DW_AT_call_line
	.byte	59                              ; DW_AT_call_column
	.byte	0                               ; End Of Children Mark
	.byte	0                               ; End Of Children Mark
	;; [unrolled: 1-line block ×4, first 2 shown]
.Ldebug_info_end0:
	.section	.debug_ranges,"",@progbits
.Ldebug_ranges0:
	.quad	.Ltmp2-.Lfunc_begin0
	.quad	.Ltmp3-.Lfunc_begin0
	;; [unrolled: 1-line block ×8, first 2 shown]
	.quad	0
	.quad	0
.Ldebug_ranges1:
	.quad	.Ltmp2-.Lfunc_begin0
	.quad	.Ltmp3-.Lfunc_begin0
	;; [unrolled: 1-line block ×42, first 2 shown]
	.quad	0
	.quad	0
	.section	.debug_str,"MS",@progbits,1
.Linfo_string0:
	.asciz	"triton"                        ; string offset=0
.Linfo_string1:
	.asciz	"max_aot.py"                    ; string offset=7
.Linfo_string2:
	.asciz	"/root/src/amdgpu-assembly/repos/FlagOpen__FlagGems/triton_aot_kernels" ; string offset=18
.Linfo_string3:
	.asciz	"max_kernel"                    ; string offset=88
	.section	".note.GNU-stack","",@progbits
	.amdgpu_metadata
---
amdhsa.kernels:
  - .agpr_count:     0
    .args:
      - .address_space:  global
        .offset:         0
        .size:           8
        .value_kind:     global_buffer
      - .address_space:  global
        .offset:         8
        .size:           8
        .value_kind:     global_buffer
      - .address_space:  global
        .offset:         16
        .size:           8
        .value_kind:     global_buffer
      - .offset:         24
        .size:           4
        .value_kind:     by_value
      - .offset:         28
        .size:           4
        .value_kind:     by_value
      - .address_space:  global
        .offset:         32
        .size:           8
        .value_kind:     global_buffer
      - .address_space:  global
        .offset:         40
        .size:           8
        .value_kind:     global_buffer
    .group_segment_fixed_size: 0
    .kernarg_segment_align: 8
    .kernarg_segment_size: 48
    .max_flat_workgroup_size: 256
    .name:           max_kernel
    .private_segment_fixed_size: 0
    .sgpr_count:     43
    .sgpr_spill_count: 0
    .symbol:         max_kernel.kd
    .uniform_work_group_size: 1
    .uses_dynamic_stack: false
    .vgpr_count:     50
    .vgpr_spill_count: 0
    .wavefront_size: 64
amdhsa.target:   amdgcn-amd-amdhsa--gfx950
amdhsa.version:
  - 1
  - 2
...

	.end_amdgpu_metadata
	.section	.debug_line,"",@progbits
.Lline_table_start0:
